;; amdgpu-corpus repo=ROCm/rocFFT kind=compiled arch=gfx906 opt=O3
	.text
	.amdgcn_target "amdgcn-amd-amdhsa--gfx906"
	.amdhsa_code_object_version 6
	.protected	fft_rtc_back_len1458_factors_6_3_3_3_3_3_wgs_243_tpt_243_halfLds_half_op_CI_CI_sbrr_dirReg ; -- Begin function fft_rtc_back_len1458_factors_6_3_3_3_3_3_wgs_243_tpt_243_halfLds_half_op_CI_CI_sbrr_dirReg
	.globl	fft_rtc_back_len1458_factors_6_3_3_3_3_3_wgs_243_tpt_243_halfLds_half_op_CI_CI_sbrr_dirReg
	.p2align	8
	.type	fft_rtc_back_len1458_factors_6_3_3_3_3_3_wgs_243_tpt_243_halfLds_half_op_CI_CI_sbrr_dirReg,@function
fft_rtc_back_len1458_factors_6_3_3_3_3_3_wgs_243_tpt_243_halfLds_half_op_CI_CI_sbrr_dirReg: ; @fft_rtc_back_len1458_factors_6_3_3_3_3_3_wgs_243_tpt_243_halfLds_half_op_CI_CI_sbrr_dirReg
; %bb.0:
	s_load_dwordx4 s[16:19], s[4:5], 0x18
	s_load_dwordx4 s[12:15], s[4:5], 0x0
	;; [unrolled: 1-line block ×3, first 2 shown]
	v_mul_u32_u24_e32 v1, 0x10e, v0
	v_mov_b32_e32 v7, 0
	s_waitcnt lgkmcnt(0)
	s_load_dwordx2 s[20:21], s[16:17], 0x0
	s_load_dwordx2 s[2:3], s[18:19], 0x0
	v_cmp_lt_u64_e64 s[0:1], s[14:15], 2
	v_mov_b32_e32 v5, 0
	v_add_u32_sdwa v9, s6, v1 dst_sel:DWORD dst_unused:UNUSED_PAD src0_sel:DWORD src1_sel:WORD_1
	v_mov_b32_e32 v10, v7
	s_and_b64 vcc, exec, s[0:1]
	v_mov_b32_e32 v6, 0
	s_cbranch_vccnz .LBB0_8
; %bb.1:
	s_load_dwordx2 s[0:1], s[4:5], 0x10
	s_add_u32 s6, s18, 8
	s_addc_u32 s7, s19, 0
	s_add_u32 s22, s16, 8
	s_addc_u32 s23, s17, 0
	v_mov_b32_e32 v5, 0
	s_waitcnt lgkmcnt(0)
	s_add_u32 s24, s0, 8
	v_mov_b32_e32 v6, 0
	v_mov_b32_e32 v1, v5
	s_addc_u32 s25, s1, 0
	s_mov_b64 s[26:27], 1
	v_mov_b32_e32 v2, v6
.LBB0_2:                                ; =>This Inner Loop Header: Depth=1
	s_load_dwordx2 s[28:29], s[24:25], 0x0
                                        ; implicit-def: $vgpr3_vgpr4
	s_waitcnt lgkmcnt(0)
	v_or_b32_e32 v8, s29, v10
	v_cmp_ne_u64_e32 vcc, 0, v[7:8]
	s_and_saveexec_b64 s[0:1], vcc
	s_xor_b64 s[30:31], exec, s[0:1]
	s_cbranch_execz .LBB0_4
; %bb.3:                                ;   in Loop: Header=BB0_2 Depth=1
	v_cvt_f32_u32_e32 v3, s28
	v_cvt_f32_u32_e32 v4, s29
	s_sub_u32 s0, 0, s28
	s_subb_u32 s1, 0, s29
	v_mac_f32_e32 v3, 0x4f800000, v4
	v_rcp_f32_e32 v3, v3
	v_mul_f32_e32 v3, 0x5f7ffffc, v3
	v_mul_f32_e32 v4, 0x2f800000, v3
	v_trunc_f32_e32 v4, v4
	v_mac_f32_e32 v3, 0xcf800000, v4
	v_cvt_u32_f32_e32 v4, v4
	v_cvt_u32_f32_e32 v3, v3
	v_mul_lo_u32 v8, s0, v4
	v_mul_hi_u32 v11, s0, v3
	v_mul_lo_u32 v13, s1, v3
	v_mul_lo_u32 v12, s0, v3
	v_add_u32_e32 v8, v11, v8
	v_add_u32_e32 v8, v8, v13
	v_mul_hi_u32 v11, v3, v12
	v_mul_lo_u32 v13, v3, v8
	v_mul_hi_u32 v15, v3, v8
	v_mul_hi_u32 v14, v4, v12
	v_mul_lo_u32 v12, v4, v12
	v_mul_hi_u32 v16, v4, v8
	v_add_co_u32_e32 v11, vcc, v11, v13
	v_addc_co_u32_e32 v13, vcc, 0, v15, vcc
	v_mul_lo_u32 v8, v4, v8
	v_add_co_u32_e32 v11, vcc, v11, v12
	v_addc_co_u32_e32 v11, vcc, v13, v14, vcc
	v_addc_co_u32_e32 v12, vcc, 0, v16, vcc
	v_add_co_u32_e32 v8, vcc, v11, v8
	v_addc_co_u32_e32 v11, vcc, 0, v12, vcc
	v_add_co_u32_e32 v3, vcc, v3, v8
	v_addc_co_u32_e32 v4, vcc, v4, v11, vcc
	v_mul_lo_u32 v8, s0, v4
	v_mul_hi_u32 v11, s0, v3
	v_mul_lo_u32 v12, s1, v3
	v_mul_lo_u32 v13, s0, v3
	v_add_u32_e32 v8, v11, v8
	v_add_u32_e32 v8, v8, v12
	v_mul_lo_u32 v14, v3, v8
	v_mul_hi_u32 v15, v3, v13
	v_mul_hi_u32 v16, v3, v8
	;; [unrolled: 1-line block ×3, first 2 shown]
	v_mul_lo_u32 v13, v4, v13
	v_mul_hi_u32 v11, v4, v8
	v_add_co_u32_e32 v14, vcc, v15, v14
	v_addc_co_u32_e32 v15, vcc, 0, v16, vcc
	v_mul_lo_u32 v8, v4, v8
	v_add_co_u32_e32 v13, vcc, v14, v13
	v_addc_co_u32_e32 v12, vcc, v15, v12, vcc
	v_addc_co_u32_e32 v11, vcc, 0, v11, vcc
	v_add_co_u32_e32 v8, vcc, v12, v8
	v_addc_co_u32_e32 v11, vcc, 0, v11, vcc
	v_add_co_u32_e32 v8, vcc, v3, v8
	v_addc_co_u32_e32 v11, vcc, v4, v11, vcc
	v_mad_u64_u32 v[3:4], s[0:1], v9, v11, 0
	v_mul_hi_u32 v12, v9, v8
	v_add_co_u32_e32 v13, vcc, v12, v3
	v_addc_co_u32_e32 v14, vcc, 0, v4, vcc
	v_mad_u64_u32 v[3:4], s[0:1], v10, v8, 0
	v_mad_u64_u32 v[11:12], s[0:1], v10, v11, 0
	v_add_co_u32_e32 v3, vcc, v13, v3
	v_addc_co_u32_e32 v3, vcc, v14, v4, vcc
	v_addc_co_u32_e32 v4, vcc, 0, v12, vcc
	v_add_co_u32_e32 v8, vcc, v3, v11
	v_addc_co_u32_e32 v11, vcc, 0, v4, vcc
	v_mul_lo_u32 v12, s29, v8
	v_mul_lo_u32 v13, s28, v11
	v_mad_u64_u32 v[3:4], s[0:1], s28, v8, 0
	v_add3_u32 v4, v4, v13, v12
	v_sub_u32_e32 v12, v10, v4
	v_mov_b32_e32 v13, s29
	v_sub_co_u32_e32 v3, vcc, v9, v3
	v_subb_co_u32_e64 v12, s[0:1], v12, v13, vcc
	v_subrev_co_u32_e64 v13, s[0:1], s28, v3
	v_subbrev_co_u32_e64 v12, s[0:1], 0, v12, s[0:1]
	v_cmp_le_u32_e64 s[0:1], s29, v12
	v_cndmask_b32_e64 v14, 0, -1, s[0:1]
	v_cmp_le_u32_e64 s[0:1], s28, v13
	v_cndmask_b32_e64 v13, 0, -1, s[0:1]
	v_cmp_eq_u32_e64 s[0:1], s29, v12
	v_cndmask_b32_e64 v12, v14, v13, s[0:1]
	v_add_co_u32_e64 v13, s[0:1], 2, v8
	v_addc_co_u32_e64 v14, s[0:1], 0, v11, s[0:1]
	v_add_co_u32_e64 v15, s[0:1], 1, v8
	v_addc_co_u32_e64 v16, s[0:1], 0, v11, s[0:1]
	v_subb_co_u32_e32 v4, vcc, v10, v4, vcc
	v_cmp_ne_u32_e64 s[0:1], 0, v12
	v_cmp_le_u32_e32 vcc, s29, v4
	v_cndmask_b32_e64 v12, v16, v14, s[0:1]
	v_cndmask_b32_e64 v14, 0, -1, vcc
	v_cmp_le_u32_e32 vcc, s28, v3
	v_cndmask_b32_e64 v3, 0, -1, vcc
	v_cmp_eq_u32_e32 vcc, s29, v4
	v_cndmask_b32_e32 v3, v14, v3, vcc
	v_cmp_ne_u32_e32 vcc, 0, v3
	v_cndmask_b32_e64 v3, v15, v13, s[0:1]
	v_cndmask_b32_e32 v4, v11, v12, vcc
	v_cndmask_b32_e32 v3, v8, v3, vcc
.LBB0_4:                                ;   in Loop: Header=BB0_2 Depth=1
	s_andn2_saveexec_b64 s[0:1], s[30:31]
	s_cbranch_execz .LBB0_6
; %bb.5:                                ;   in Loop: Header=BB0_2 Depth=1
	v_cvt_f32_u32_e32 v3, s28
	s_sub_i32 s30, 0, s28
	v_rcp_iflag_f32_e32 v3, v3
	v_mul_f32_e32 v3, 0x4f7ffffe, v3
	v_cvt_u32_f32_e32 v3, v3
	v_mul_lo_u32 v4, s30, v3
	v_mul_hi_u32 v4, v3, v4
	v_add_u32_e32 v3, v3, v4
	v_mul_hi_u32 v3, v9, v3
	v_mul_lo_u32 v4, v3, s28
	v_add_u32_e32 v8, 1, v3
	v_sub_u32_e32 v4, v9, v4
	v_subrev_u32_e32 v11, s28, v4
	v_cmp_le_u32_e32 vcc, s28, v4
	v_cndmask_b32_e32 v4, v4, v11, vcc
	v_cndmask_b32_e32 v3, v3, v8, vcc
	v_add_u32_e32 v8, 1, v3
	v_cmp_le_u32_e32 vcc, s28, v4
	v_cndmask_b32_e32 v3, v3, v8, vcc
	v_mov_b32_e32 v4, v7
.LBB0_6:                                ;   in Loop: Header=BB0_2 Depth=1
	s_or_b64 exec, exec, s[0:1]
	v_mul_lo_u32 v8, v4, s28
	v_mul_lo_u32 v13, v3, s29
	v_mad_u64_u32 v[11:12], s[0:1], v3, s28, 0
	s_load_dwordx2 s[0:1], s[22:23], 0x0
	s_load_dwordx2 s[28:29], s[6:7], 0x0
	v_add3_u32 v8, v12, v13, v8
	v_sub_co_u32_e32 v9, vcc, v9, v11
	v_subb_co_u32_e32 v8, vcc, v10, v8, vcc
	s_waitcnt lgkmcnt(0)
	v_mul_lo_u32 v10, s0, v8
	v_mul_lo_u32 v11, s1, v9
	v_mad_u64_u32 v[5:6], s[0:1], s0, v9, v[5:6]
	v_mul_lo_u32 v8, s28, v8
	v_mul_lo_u32 v12, s29, v9
	v_mad_u64_u32 v[1:2], s[0:1], s28, v9, v[1:2]
	s_add_u32 s26, s26, 1
	s_addc_u32 s27, s27, 0
	s_add_u32 s6, s6, 8
	v_add3_u32 v2, v12, v2, v8
	s_addc_u32 s7, s7, 0
	v_mov_b32_e32 v8, s14
	s_add_u32 s22, s22, 8
	v_mov_b32_e32 v9, s15
	s_addc_u32 s23, s23, 0
	v_cmp_ge_u64_e32 vcc, s[26:27], v[8:9]
	s_add_u32 s24, s24, 8
	v_add3_u32 v6, v11, v6, v10
	s_addc_u32 s25, s25, 0
	s_cbranch_vccnz .LBB0_9
; %bb.7:                                ;   in Loop: Header=BB0_2 Depth=1
	v_mov_b32_e32 v10, v4
	v_mov_b32_e32 v9, v3
	s_branch .LBB0_2
.LBB0_8:
	v_mov_b32_e32 v1, v5
	v_mov_b32_e32 v3, v9
	;; [unrolled: 1-line block ×4, first 2 shown]
.LBB0_9:
	s_load_dwordx2 s[0:1], s[4:5], 0x28
	s_lshl_b64 s[14:15], s[14:15], 3
	s_add_u32 s4, s18, s14
	s_addc_u32 s5, s19, s15
                                        ; implicit-def: $vgpr7
                                        ; implicit-def: $vgpr8
	s_waitcnt lgkmcnt(0)
	v_cmp_gt_u64_e32 vcc, s[0:1], v[3:4]
	v_cmp_le_u64_e64 s[0:1], s[0:1], v[3:4]
	s_and_saveexec_b64 s[6:7], s[0:1]
	s_xor_b64 s[0:1], exec, s[6:7]
; %bb.10:
	s_mov_b32 s6, 0x10db20b
	v_mul_hi_u32 v5, v0, s6
	v_mul_u32_u24_e32 v5, 0xf3, v5
	v_sub_u32_e32 v7, v0, v5
	v_add_u32_e32 v8, 0xf3, v7
                                        ; implicit-def: $vgpr0
                                        ; implicit-def: $vgpr5_vgpr6
; %bb.11:
	s_or_saveexec_b64 s[6:7], s[0:1]
                                        ; implicit-def: $vgpr13
                                        ; implicit-def: $vgpr9
                                        ; implicit-def: $vgpr18
                                        ; implicit-def: $vgpr12
                                        ; implicit-def: $vgpr14
                                        ; implicit-def: $vgpr10
                                        ; implicit-def: $vgpr19
                                        ; implicit-def: $vgpr15
                                        ; implicit-def: $vgpr16
                                        ; implicit-def: $vgpr11
                                        ; implicit-def: $vgpr20
                                        ; implicit-def: $vgpr17
	s_xor_b64 exec, exec, s[6:7]
	s_cbranch_execz .LBB0_13
; %bb.12:
	s_add_u32 s0, s16, s14
	s_mov_b32 s14, 0x10db20b
	v_mul_hi_u32 v7, v0, s14
	s_addc_u32 s1, s17, s15
	s_load_dwordx2 s[0:1], s[0:1], 0x0
	v_lshlrev_b64 v[5:6], 2, v[5:6]
	v_mul_u32_u24_e32 v7, 0xf3, v7
	v_sub_u32_e32 v7, v0, v7
	v_mad_u64_u32 v[9:10], s[14:15], s20, v7, 0
	s_waitcnt lgkmcnt(0)
	v_mul_lo_u32 v8, s1, v3
	v_mul_lo_u32 v15, s0, v4
	v_mad_u64_u32 v[11:12], s[0:1], s0, v3, 0
	v_mov_b32_e32 v0, v10
	v_mad_u64_u32 v[13:14], s[0:1], s21, v7, v[0:1]
	v_add3_u32 v12, v12, v15, v8
	v_lshlrev_b64 v[11:12], 2, v[11:12]
	v_mov_b32_e32 v10, v13
	v_mov_b32_e32 v0, s9
	v_add_co_u32_e64 v13, s[0:1], s8, v11
	v_add_u32_e32 v8, 0xf3, v7
	v_addc_co_u32_e64 v0, s[0:1], v0, v12, s[0:1]
	v_mad_u64_u32 v[11:12], s[0:1], s20, v8, 0
	v_add_co_u32_e64 v17, s[0:1], v13, v5
	v_addc_co_u32_e64 v26, s[0:1], v0, v6, s[0:1]
	v_mov_b32_e32 v0, v12
	v_add_u32_e32 v15, 0x1e6, v7
	v_lshlrev_b64 v[5:6], 2, v[9:10]
	v_mad_u64_u32 v[9:10], s[0:1], s21, v8, v[0:1]
	v_mad_u64_u32 v[13:14], s[0:1], s20, v15, 0
	v_add_co_u32_e64 v5, s[0:1], v17, v5
	v_mov_b32_e32 v12, v9
	v_mov_b32_e32 v0, v14
	v_addc_co_u32_e64 v6, s[0:1], v26, v6, s[0:1]
	v_lshlrev_b64 v[9:10], 2, v[11:12]
	v_mad_u64_u32 v[11:12], s[0:1], s21, v15, v[0:1]
	v_add_u32_e32 v12, 0x2d9, v7
	v_mad_u64_u32 v[15:16], s[0:1], s20, v12, 0
	v_add_co_u32_e64 v18, s[0:1], v17, v9
	v_mov_b32_e32 v14, v11
	v_mov_b32_e32 v0, v16
	v_addc_co_u32_e64 v19, s[0:1], v26, v10, s[0:1]
	v_lshlrev_b64 v[9:10], 2, v[13:14]
	v_mad_u64_u32 v[11:12], s[0:1], s21, v12, v[0:1]
	v_add_u32_e32 v14, 0x3cc, v7
	v_mad_u64_u32 v[12:13], s[0:1], s20, v14, 0
	v_add_co_u32_e64 v20, s[0:1], v17, v9
	v_mov_b32_e32 v0, v13
	v_addc_co_u32_e64 v21, s[0:1], v26, v10, s[0:1]
	v_mov_b32_e32 v16, v11
	v_mad_u64_u32 v[13:14], s[0:1], s21, v14, v[0:1]
	v_add_u32_e32 v11, 0x4bf, v7
	v_lshlrev_b64 v[9:10], 2, v[15:16]
	v_mad_u64_u32 v[14:15], s[0:1], s20, v11, 0
	v_add_co_u32_e64 v22, s[0:1], v17, v9
	v_mov_b32_e32 v0, v15
	v_addc_co_u32_e64 v23, s[0:1], v26, v10, s[0:1]
	v_lshlrev_b64 v[9:10], 2, v[12:13]
	v_mad_u64_u32 v[11:12], s[0:1], s21, v11, v[0:1]
	v_add_co_u32_e64 v24, s[0:1], v17, v9
	v_mov_b32_e32 v15, v11
	v_addc_co_u32_e64 v25, s[0:1], v26, v10, s[0:1]
	v_lshlrev_b64 v[9:10], 2, v[14:15]
	v_add_co_u32_e64 v13, s[0:1], v17, v9
	v_addc_co_u32_e64 v14, s[0:1], v26, v10, s[0:1]
	global_load_dword v17, v[5:6], off
	global_load_dword v11, v[18:19], off
	;; [unrolled: 1-line block ×6, first 2 shown]
	s_waitcnt vmcnt(5)
	v_lshrrev_b32_e32 v20, 16, v17
	s_waitcnt vmcnt(4)
	v_lshrrev_b32_e32 v16, 16, v11
	;; [unrolled: 2-line block ×6, first 2 shown]
.LBB0_13:
	s_or_b64 exec, exec, s[6:7]
	v_add_f16_e32 v5, v12, v15
	v_fma_f16 v5, v5, -0.5, v17
	v_sub_f16_e32 v6, v19, v18
	s_mov_b32 s6, 0xbaee
	s_movk_i32 s7, 0x3aee
	v_add_f16_e32 v0, v15, v17
	v_fma_f16 v17, v6, s6, v5
	v_fma_f16 v5, v6, s7, v5
	v_add_f16_e32 v6, v19, v20
	v_add_f16_e32 v6, v18, v6
	v_add_f16_e32 v18, v18, v19
	v_add_f16_e32 v0, v12, v0
	v_fma_f16 v18, v18, -0.5, v20
	v_sub_f16_e32 v12, v15, v12
	v_add_f16_e32 v19, v9, v10
	v_fma_f16 v15, v12, s7, v18
	v_fma_f16 v12, v12, s6, v18
	v_add_f16_e32 v18, v10, v11
	v_fma_f16 v11, v19, -0.5, v11
	v_sub_f16_e32 v19, v14, v13
	v_fma_f16 v20, v19, s6, v11
	v_fma_f16 v11, v19, s7, v11
	v_add_f16_e32 v19, v14, v16
	v_add_f16_e32 v19, v13, v19
	;; [unrolled: 1-line block ×4, first 2 shown]
	v_fma_f16 v13, v13, -0.5, v16
	v_sub_f16_e32 v9, v10, v9
	v_fma_f16 v10, v9, s7, v13
	v_fma_f16 v9, v9, s6, v13
	v_mul_f16_e32 v14, 0xbaee, v10
	v_mul_f16_e32 v21, 0xbaee, v9
	v_fma_f16 v14, v20, 0.5, v14
	v_fma_f16 v21, v11, -0.5, v21
	v_mul_f16_e32 v20, 0x3aee, v20
	v_mul_f16_e32 v9, -0.5, v9
	v_add_f16_e32 v13, v18, v0
	v_add_f16_e32 v16, v17, v14
	;; [unrolled: 1-line block ×3, first 2 shown]
	v_fma_f16 v10, v10, 0.5, v20
	v_fma_f16 v9, v11, s7, v9
	v_sub_f16_e32 v18, v0, v18
	v_sub_f16_e32 v14, v17, v14
	;; [unrolled: 1-line block ×3, first 2 shown]
	v_mul_u32_u24_e32 v0, 6, v7
	v_add_f16_e32 v23, v19, v6
	v_add_f16_e32 v20, v15, v10
	;; [unrolled: 1-line block ×3, first 2 shown]
	v_sub_f16_e32 v6, v6, v19
	v_sub_f16_e32 v15, v15, v10
	;; [unrolled: 1-line block ×3, first 2 shown]
	v_lshl_add_u32 v0, v0, 1, 0
	v_pack_b32_f16 v9, v22, v18
	v_pack_b32_f16 v10, v13, v16
	;; [unrolled: 1-line block ×3, first 2 shown]
	ds_write2_b32 v0, v10, v9 offset1:1
	ds_write_b32 v0, v5 offset:8
	v_mad_i32_i24 v10, v7, -10, v0
	v_pack_b32_f16 v5, v11, v6
	v_pack_b32_f16 v6, v23, v20
	s_load_dwordx2 s[4:5], s[4:5], 0x0
	s_waitcnt lgkmcnt(0)
	s_barrier
	v_lshl_add_u32 v9, v8, 1, 0
	ds_read_u16 v13, v10 offset:2430
	ds_read_u16 v14, v10 offset:1944
	;; [unrolled: 1-line block ×4, first 2 shown]
	ds_read_u16 v18, v10
	ds_read_u16 v19, v9
	s_waitcnt lgkmcnt(0)
	s_barrier
	ds_write2_b32 v0, v6, v5 offset1:1
	v_pack_b32_f16 v5, v15, v12
	s_movk_i32 s0, 0xab
	ds_write_b32 v0, v5 offset:8
	v_mul_lo_u16_sdwa v5, v7, s0 dst_sel:DWORD dst_unused:UNUSED_PAD src0_sel:BYTE_0 src1_sel:DWORD
	v_lshrrev_b16_e32 v15, 10, v5
	v_mul_lo_u16_e32 v5, 6, v15
	v_sub_u16_e32 v20, v7, v5
	v_mov_b32_e32 v21, 3
	s_mov_b32 s0, 0xaaab
	v_lshlrev_b32_sdwa v5, v21, v20 dst_sel:DWORD dst_unused:UNUSED_PAD src0_sel:DWORD src1_sel:BYTE_0
	v_mul_u32_u24_sdwa v11, v8, s0 dst_sel:DWORD dst_unused:UNUSED_PAD src0_sel:WORD_0 src1_sel:DWORD
	s_waitcnt lgkmcnt(0)
	s_barrier
	global_load_dwordx2 v[5:6], v5, s[12:13]
	v_lshrrev_b32_e32 v22, 18, v11
	v_mul_lo_u16_e32 v11, 6, v22
	v_sub_u16_e32 v23, v8, v11
	v_lshlrev_b32_e32 v11, 3, v23
	global_load_dwordx2 v[11:12], v11, s[12:13]
	ds_read_u16 v24, v10 offset:972
	ds_read_u16 v25, v10 offset:1458
	;; [unrolled: 1-line block ×4, first 2 shown]
	ds_read_u16 v28, v10
	v_mul_u32_u24_e32 v15, 36, v15
	s_mov_b32 s0, 0xe38f
	s_waitcnt vmcnt(1) lgkmcnt(4)
	v_mul_f16_sdwa v29, v24, v5 dst_sel:DWORD dst_unused:UNUSED_PAD src0_sel:DWORD src1_sel:WORD_1
	v_fma_f16 v29, v17, v5, v29
	v_mul_f16_sdwa v17, v17, v5 dst_sel:DWORD dst_unused:UNUSED_PAD src0_sel:DWORD src1_sel:WORD_1
	v_fma_f16 v5, v24, v5, -v17
	s_waitcnt lgkmcnt(1)
	v_mul_f16_sdwa v17, v27, v6 dst_sel:DWORD dst_unused:UNUSED_PAD src0_sel:DWORD src1_sel:WORD_1
	v_fma_f16 v17, v14, v6, v17
	v_mul_f16_sdwa v14, v14, v6 dst_sel:DWORD dst_unused:UNUSED_PAD src0_sel:DWORD src1_sel:WORD_1
	v_fma_f16 v6, v27, v6, -v14
	s_waitcnt vmcnt(0)
	v_mul_f16_sdwa v14, v25, v11 dst_sel:DWORD dst_unused:UNUSED_PAD src0_sel:DWORD src1_sel:WORD_1
	v_fma_f16 v14, v16, v11, v14
	v_mul_f16_sdwa v16, v16, v11 dst_sel:DWORD dst_unused:UNUSED_PAD src0_sel:DWORD src1_sel:WORD_1
	v_fma_f16 v11, v25, v11, -v16
	v_mul_f16_sdwa v16, v26, v12 dst_sel:DWORD dst_unused:UNUSED_PAD src0_sel:DWORD src1_sel:WORD_1
	v_fma_f16 v16, v13, v12, v16
	v_mul_f16_sdwa v13, v13, v12 dst_sel:DWORD dst_unused:UNUSED_PAD src0_sel:DWORD src1_sel:WORD_1
	v_fma_f16 v12, v26, v12, -v13
	v_add_f16_e32 v13, v29, v17
	v_fma_f16 v13, v13, -0.5, v18
	v_sub_f16_e32 v24, v5, v6
	v_fma_f16 v25, v24, s6, v13
	v_fma_f16 v13, v24, s7, v13
	ds_read_u16 v24, v9
	s_waitcnt lgkmcnt(1)
	v_add_f16_e32 v26, v28, v5
	v_add_f16_e32 v26, v26, v6
	;; [unrolled: 1-line block ×4, first 2 shown]
	v_fma_f16 v5, v5, -0.5, v28
	v_add_f16_e32 v6, v6, v17
	v_sub_f16_e32 v17, v29, v17
	v_fma_f16 v18, v17, s7, v5
	v_fma_f16 v5, v17, s6, v5
	v_add_f16_e32 v17, v14, v16
	v_fma_f16 v17, v17, -0.5, v19
	v_sub_f16_e32 v27, v11, v12
	v_fma_f16 v28, v27, s6, v17
	v_fma_f16 v17, v27, s7, v17
	s_waitcnt lgkmcnt(0)
	v_add_f16_e32 v27, v24, v11
	v_add_f16_e32 v11, v11, v12
	;; [unrolled: 1-line block ×3, first 2 shown]
	v_fma_f16 v11, v11, -0.5, v24
	v_add_f16_e32 v12, v19, v14
	v_sub_f16_e32 v14, v14, v16
	v_add_f16_e32 v12, v12, v16
	v_fma_f16 v16, v14, s7, v11
	v_fma_f16 v11, v14, s6, v11
	v_mov_b32_e32 v14, 1
	v_lshlrev_b32_sdwa v19, v14, v20 dst_sel:DWORD dst_unused:UNUSED_PAD src0_sel:DWORD src1_sel:BYTE_0
	v_add3_u32 v15, 0, v15, v19
	s_barrier
	ds_write_b16 v15, v6
	ds_write_b16 v15, v25 offset:12
	v_lshlrev_b32_e32 v6, 1, v23
	ds_write_b16 v15, v13 offset:24
	v_mul_u32_u24_e32 v13, 36, v22
	v_add3_u32 v6, 0, v13, v6
	ds_write_b16 v6, v12
	ds_write_b16 v6, v28 offset:12
	ds_write_b16 v6, v17 offset:24
	s_waitcnt lgkmcnt(0)
	s_barrier
	ds_read_u16 v13, v10 offset:2430
	ds_read_u16 v17, v10 offset:1944
	;; [unrolled: 1-line block ×4, first 2 shown]
	ds_read_u16 v22, v10
	ds_read_u16 v23, v9
	s_waitcnt lgkmcnt(0)
	s_barrier
	ds_write_b16 v15, v26
	ds_write_b16 v15, v18 offset:12
	ds_write_b16 v15, v5 offset:24
	ds_write_b16 v6, v27
	ds_write_b16 v6, v16 offset:12
	ds_write_b16 v6, v11 offset:24
	v_mov_b32_e32 v5, 57
	v_mul_lo_u16_sdwa v5, v7, v5 dst_sel:DWORD dst_unused:UNUSED_PAD src0_sel:BYTE_0 src1_sel:DWORD
	v_lshrrev_b16_e32 v15, 10, v5
	v_mul_lo_u16_e32 v5, 18, v15
	v_sub_u16_e32 v16, v7, v5
	v_lshlrev_b32_sdwa v5, v21, v16 dst_sel:DWORD dst_unused:UNUSED_PAD src0_sel:DWORD src1_sel:BYTE_0
	v_mul_u32_u24_sdwa v11, v8, s0 dst_sel:DWORD dst_unused:UNUSED_PAD src0_sel:WORD_0 src1_sel:DWORD
	s_waitcnt lgkmcnt(0)
	s_barrier
	global_load_dwordx2 v[5:6], v5, s[12:13] offset:48
	v_lshrrev_b32_e32 v18, 20, v11
	v_mul_lo_u16_e32 v11, 18, v18
	v_sub_u16_e32 v24, v8, v11
	v_lshlrev_b32_e32 v11, 3, v24
	global_load_dwordx2 v[11:12], v11, s[12:13] offset:48
	ds_read_u16 v25, v10 offset:972
	ds_read_u16 v26, v10 offset:1458
	;; [unrolled: 1-line block ×4, first 2 shown]
	ds_read_u16 v29, v10
	v_lshlrev_b32_sdwa v16, v14, v16 dst_sel:DWORD dst_unused:UNUSED_PAD src0_sel:DWORD src1_sel:BYTE_0
	v_mul_u32_u24_e32 v15, 0x6c, v15
	v_add3_u32 v15, 0, v15, v16
	s_movk_i32 s0, 0xa2
	v_cmp_gt_u32_e64 s[0:1], s0, v7
	s_waitcnt vmcnt(1) lgkmcnt(4)
	v_mul_f16_sdwa v30, v25, v5 dst_sel:DWORD dst_unused:UNUSED_PAD src0_sel:DWORD src1_sel:WORD_1
	v_fma_f16 v30, v20, v5, v30
	v_mul_f16_sdwa v20, v20, v5 dst_sel:DWORD dst_unused:UNUSED_PAD src0_sel:DWORD src1_sel:WORD_1
	v_fma_f16 v5, v25, v5, -v20
	s_waitcnt lgkmcnt(1)
	v_mul_f16_sdwa v20, v28, v6 dst_sel:DWORD dst_unused:UNUSED_PAD src0_sel:DWORD src1_sel:WORD_1
	v_fma_f16 v20, v17, v6, v20
	v_mul_f16_sdwa v17, v17, v6 dst_sel:DWORD dst_unused:UNUSED_PAD src0_sel:DWORD src1_sel:WORD_1
	v_fma_f16 v6, v28, v6, -v17
	s_waitcnt vmcnt(0)
	v_mul_f16_sdwa v17, v26, v11 dst_sel:DWORD dst_unused:UNUSED_PAD src0_sel:DWORD src1_sel:WORD_1
	v_fma_f16 v17, v19, v11, v17
	v_mul_f16_sdwa v19, v19, v11 dst_sel:DWORD dst_unused:UNUSED_PAD src0_sel:DWORD src1_sel:WORD_1
	v_fma_f16 v11, v26, v11, -v19
	v_mul_f16_sdwa v19, v27, v12 dst_sel:DWORD dst_unused:UNUSED_PAD src0_sel:DWORD src1_sel:WORD_1
	v_fma_f16 v19, v13, v12, v19
	v_mul_f16_sdwa v13, v13, v12 dst_sel:DWORD dst_unused:UNUSED_PAD src0_sel:DWORD src1_sel:WORD_1
	v_fma_f16 v12, v27, v12, -v13
	v_add_f16_e32 v13, v30, v20
	v_fma_f16 v13, v13, -0.5, v22
	v_sub_f16_e32 v25, v5, v6
	v_fma_f16 v26, v25, s6, v13
	v_fma_f16 v13, v25, s7, v13
	ds_read_u16 v25, v9
	s_waitcnt lgkmcnt(1)
	v_add_f16_e32 v27, v29, v5
	v_add_f16_e32 v27, v27, v6
	v_add_f16_e32 v5, v5, v6
	v_add_f16_e32 v6, v22, v30
	v_fma_f16 v5, v5, -0.5, v29
	v_add_f16_e32 v6, v6, v20
	v_sub_f16_e32 v20, v30, v20
	v_fma_f16 v22, v20, s7, v5
	v_fma_f16 v5, v20, s6, v5
	v_add_f16_e32 v20, v17, v19
	v_fma_f16 v20, v20, -0.5, v23
	v_sub_f16_e32 v28, v11, v12
	v_fma_f16 v29, v28, s6, v20
	v_fma_f16 v20, v28, s7, v20
	s_waitcnt lgkmcnt(0)
	v_add_f16_e32 v28, v25, v11
	v_add_f16_e32 v28, v28, v12
	;; [unrolled: 1-line block ×4, first 2 shown]
	s_barrier
	ds_write_b16 v15, v6
	ds_write_b16 v15, v26 offset:36
	v_lshlrev_b32_e32 v6, 1, v24
	ds_write_b16 v15, v13 offset:72
	v_mul_u32_u24_e32 v13, 0x6c, v18
	v_fma_f16 v11, v11, -0.5, v25
	v_add_f16_e32 v12, v12, v19
	v_sub_f16_e32 v17, v17, v19
	v_add3_u32 v6, 0, v13, v6
	v_fma_f16 v19, v17, s7, v11
	v_fma_f16 v11, v17, s6, v11
	ds_write_b16 v6, v12
	ds_write_b16 v6, v29 offset:36
	ds_write_b16 v6, v20 offset:72
	s_waitcnt lgkmcnt(0)
	s_barrier
	ds_read_u16 v13, v10 offset:2430
	ds_read_u16 v16, v10 offset:1944
	;; [unrolled: 1-line block ×4, first 2 shown]
	ds_read_u16 v20, v10
	ds_read_u16 v23, v9
	s_waitcnt lgkmcnt(0)
	s_barrier
	ds_write_b16 v15, v27
	ds_write_b16 v15, v22 offset:36
	ds_write_b16 v15, v5 offset:72
	ds_write_b16 v6, v28
	ds_write_b16 v6, v19 offset:36
	ds_write_b16 v6, v11 offset:72
	v_mov_b32_e32 v5, 19
	v_mul_lo_u16_sdwa v5, v7, v5 dst_sel:DWORD dst_unused:UNUSED_PAD src0_sel:BYTE_0 src1_sel:DWORD
	v_lshrrev_b16_e32 v15, 10, v5
	v_mul_lo_u16_e32 v5, 54, v15
	v_sub_u16_e32 v19, v7, v5
	v_lshrrev_b16_e32 v11, 1, v8
	v_lshlrev_b32_sdwa v5, v21, v19 dst_sel:DWORD dst_unused:UNUSED_PAD src0_sel:DWORD src1_sel:BYTE_0
	v_mul_u32_u24_e32 v11, 0x97b5, v11
	s_waitcnt lgkmcnt(0)
	s_barrier
	global_load_dwordx2 v[5:6], v5, s[12:13] offset:192
	v_lshrrev_b32_e32 v21, 20, v11
	v_mul_lo_u16_e32 v11, 54, v21
	v_sub_u16_e32 v22, v8, v11
	v_lshlrev_b32_e32 v11, 3, v22
	global_load_dwordx2 v[11:12], v11, s[12:13] offset:192
	ds_read_u16 v24, v10 offset:972
	ds_read_u16 v25, v10 offset:1458
	;; [unrolled: 1-line block ×4, first 2 shown]
	ds_read_u16 v28, v10
	v_mul_u32_u24_e32 v15, 0x144, v15
	s_waitcnt vmcnt(1) lgkmcnt(4)
	v_mul_f16_sdwa v29, v24, v5 dst_sel:DWORD dst_unused:UNUSED_PAD src0_sel:DWORD src1_sel:WORD_1
	v_fma_f16 v29, v18, v5, v29
	v_mul_f16_sdwa v18, v18, v5 dst_sel:DWORD dst_unused:UNUSED_PAD src0_sel:DWORD src1_sel:WORD_1
	v_fma_f16 v5, v24, v5, -v18
	s_waitcnt lgkmcnt(1)
	v_mul_f16_sdwa v18, v27, v6 dst_sel:DWORD dst_unused:UNUSED_PAD src0_sel:DWORD src1_sel:WORD_1
	v_fma_f16 v18, v16, v6, v18
	v_mul_f16_sdwa v16, v16, v6 dst_sel:DWORD dst_unused:UNUSED_PAD src0_sel:DWORD src1_sel:WORD_1
	v_fma_f16 v6, v27, v6, -v16
	s_waitcnt vmcnt(0)
	v_mul_f16_sdwa v16, v25, v11 dst_sel:DWORD dst_unused:UNUSED_PAD src0_sel:DWORD src1_sel:WORD_1
	v_fma_f16 v16, v17, v11, v16
	v_mul_f16_sdwa v17, v17, v11 dst_sel:DWORD dst_unused:UNUSED_PAD src0_sel:DWORD src1_sel:WORD_1
	v_fma_f16 v11, v25, v11, -v17
	v_mul_f16_sdwa v17, v26, v12 dst_sel:DWORD dst_unused:UNUSED_PAD src0_sel:DWORD src1_sel:WORD_1
	v_fma_f16 v17, v13, v12, v17
	v_mul_f16_sdwa v13, v13, v12 dst_sel:DWORD dst_unused:UNUSED_PAD src0_sel:DWORD src1_sel:WORD_1
	v_fma_f16 v12, v26, v12, -v13
	v_lshlrev_b32_sdwa v13, v14, v19 dst_sel:DWORD dst_unused:UNUSED_PAD src0_sel:DWORD src1_sel:BYTE_0
	v_add_f16_e32 v14, v29, v18
	v_fma_f16 v14, v14, -0.5, v20
	v_sub_f16_e32 v19, v5, v6
	v_fma_f16 v24, v19, s6, v14
	v_fma_f16 v14, v19, s7, v14
	ds_read_u16 v19, v9
	s_waitcnt lgkmcnt(1)
	v_add_f16_e32 v25, v28, v5
	v_add_f16_e32 v25, v25, v6
	v_add_f16_e32 v5, v5, v6
	v_add_f16_e32 v6, v20, v29
	v_fma_f16 v5, v5, -0.5, v28
	v_add_f16_e32 v6, v6, v18
	v_sub_f16_e32 v18, v29, v18
	v_fma_f16 v20, v18, s7, v5
	v_fma_f16 v5, v18, s6, v5
	v_add_f16_e32 v18, v16, v17
	v_fma_f16 v18, v18, -0.5, v23
	v_sub_f16_e32 v26, v11, v12
	v_fma_f16 v27, v26, s6, v18
	v_fma_f16 v18, v26, s7, v18
	s_waitcnt lgkmcnt(0)
	v_add_f16_e32 v26, v19, v11
	v_add3_u32 v13, 0, v15, v13
	v_add_f16_e32 v26, v26, v12
	v_add_f16_e32 v11, v11, v12
	;; [unrolled: 1-line block ×3, first 2 shown]
	v_lshlrev_b32_e32 v15, 1, v22
	s_barrier
	ds_write_b16 v13, v6
	ds_write_b16 v13, v24 offset:108
	ds_write_b16 v13, v14 offset:216
	v_mul_u32_u24_e32 v6, 0x144, v21
	v_fma_f16 v11, v11, -0.5, v19
	v_add_f16_e32 v12, v12, v17
	v_sub_f16_e32 v16, v16, v17
	v_add3_u32 v6, 0, v6, v15
	v_fma_f16 v17, v16, s7, v11
	v_fma_f16 v11, v16, s6, v11
	ds_write_b16 v6, v12
	ds_write_b16 v6, v27 offset:108
	ds_write_b16 v6, v18 offset:216
	s_waitcnt lgkmcnt(0)
	s_barrier
	ds_read_u16 v15, v10 offset:2430
	ds_read_u16 v16, v10 offset:1944
	;; [unrolled: 1-line block ×4, first 2 shown]
	ds_read_u16 v21, v10
	ds_read_u16 v22, v9
	s_waitcnt lgkmcnt(0)
	s_barrier
	ds_write_b16 v13, v25
	ds_write_b16 v13, v20 offset:108
	ds_write_b16 v13, v5 offset:216
	ds_write_b16 v6, v26
	ds_write_b16 v6, v17 offset:108
	ds_write_b16 v6, v11 offset:216
	v_add_u32_e32 v5, 0xffffff5e, v7
	v_cndmask_b32_e64 v5, v5, v7, s[0:1]
	v_lshlrev_b32_e32 v5, 1, v5
	v_mov_b32_e32 v6, 0
	v_lshlrev_b64 v[11:12], 2, v[5:6]
	v_mov_b32_e32 v13, s13
	v_add_co_u32_e64 v11, s[0:1], s12, v11
	v_addc_co_u32_e64 v12, s[0:1], v13, v12, s[0:1]
	s_movk_i32 s0, 0x6523
	v_mul_u32_u24_sdwa v13, v8, s0 dst_sel:DWORD dst_unused:UNUSED_PAD src0_sel:WORD_0 src1_sel:DWORD
	s_waitcnt lgkmcnt(0)
	s_barrier
	global_load_dwordx2 v[11:12], v[11:12], off offset:624
	v_lshrrev_b32_e32 v17, 22, v13
	v_mul_lo_u16_e32 v13, 0xa2, v17
	v_sub_u16_e32 v20, v8, v13
	v_lshlrev_b32_e32 v13, 3, v20
	global_load_dwordx2 v[13:14], v13, s[12:13] offset:624
	ds_read_u16 v23, v10 offset:972
	ds_read_u16 v24, v10 offset:1458
	;; [unrolled: 1-line block ×4, first 2 shown]
	ds_read_u16 v27, v10
	s_movk_i32 s0, 0xa1
	v_cmp_lt_u32_e64 s[0:1], s0, v7
	s_waitcnt vmcnt(1) lgkmcnt(4)
	v_mul_f16_sdwa v28, v23, v11 dst_sel:DWORD dst_unused:UNUSED_PAD src0_sel:DWORD src1_sel:WORD_1
	v_fma_f16 v28, v19, v11, v28
	v_mul_f16_sdwa v19, v19, v11 dst_sel:DWORD dst_unused:UNUSED_PAD src0_sel:DWORD src1_sel:WORD_1
	v_fma_f16 v11, v23, v11, -v19
	s_waitcnt lgkmcnt(1)
	v_mul_f16_sdwa v19, v26, v12 dst_sel:DWORD dst_unused:UNUSED_PAD src0_sel:DWORD src1_sel:WORD_1
	v_fma_f16 v19, v16, v12, v19
	v_mul_f16_sdwa v16, v16, v12 dst_sel:DWORD dst_unused:UNUSED_PAD src0_sel:DWORD src1_sel:WORD_1
	v_fma_f16 v12, v26, v12, -v16
	s_waitcnt vmcnt(0)
	v_mul_f16_sdwa v16, v24, v13 dst_sel:DWORD dst_unused:UNUSED_PAD src0_sel:DWORD src1_sel:WORD_1
	v_fma_f16 v16, v18, v13, v16
	v_mul_f16_sdwa v18, v18, v13 dst_sel:DWORD dst_unused:UNUSED_PAD src0_sel:DWORD src1_sel:WORD_1
	v_fma_f16 v13, v24, v13, -v18
	v_mul_f16_sdwa v18, v25, v14 dst_sel:DWORD dst_unused:UNUSED_PAD src0_sel:DWORD src1_sel:WORD_1
	v_fma_f16 v18, v15, v14, v18
	v_mul_f16_sdwa v15, v15, v14 dst_sel:DWORD dst_unused:UNUSED_PAD src0_sel:DWORD src1_sel:WORD_1
	v_fma_f16 v14, v25, v14, -v15
	v_add_f16_e32 v15, v28, v19
	v_fma_f16 v15, v15, -0.5, v21
	v_sub_f16_e32 v23, v11, v12
	v_fma_f16 v24, v23, s6, v15
	v_fma_f16 v15, v23, s7, v15
	ds_read_u16 v23, v9
	s_waitcnt lgkmcnt(1)
	v_add_f16_e32 v25, v27, v11
	v_add_f16_e32 v25, v25, v12
	;; [unrolled: 1-line block ×4, first 2 shown]
	v_fma_f16 v11, v11, -0.5, v27
	v_add_f16_e32 v12, v12, v19
	v_sub_f16_e32 v19, v28, v19
	v_fma_f16 v21, v19, s7, v11
	v_fma_f16 v19, v19, s6, v11
	v_add_f16_e32 v11, v16, v18
	v_fma_f16 v11, v11, -0.5, v22
	v_sub_f16_e32 v26, v13, v14
	v_fma_f16 v27, v26, s6, v11
	v_fma_f16 v11, v26, s7, v11
	s_waitcnt lgkmcnt(0)
	v_add_f16_e32 v26, v23, v13
	v_add_f16_e32 v13, v13, v14
	;; [unrolled: 1-line block ×3, first 2 shown]
	v_fma_f16 v13, v13, -0.5, v23
	v_add_f16_e32 v14, v22, v16
	v_sub_f16_e32 v16, v16, v18
	v_add_f16_e32 v14, v14, v18
	v_fma_f16 v18, v16, s7, v13
	v_fma_f16 v16, v16, s6, v13
	v_mov_b32_e32 v13, 0x3cc
	v_cndmask_b32_e64 v13, 0, v13, s[0:1]
	v_add3_u32 v5, 0, v13, v5
	s_barrier
	ds_write_b16 v5, v12
	ds_write_b16 v5, v24 offset:324
	v_lshlrev_b32_e32 v12, 1, v20
	v_mul_u32_u24_e32 v13, 0x3cc, v17
	v_add3_u32 v17, 0, v13, v12
	ds_write_b16 v5, v15 offset:648
	ds_write_b16 v17, v14
	ds_write_b16 v17, v27 offset:324
	ds_write_b16 v17, v11 offset:648
	s_waitcnt lgkmcnt(0)
	s_barrier
	ds_read_u16 v14, v10 offset:2430
	ds_read_u16 v11, v10 offset:1944
	;; [unrolled: 1-line block ×4, first 2 shown]
	ds_read_u16 v10, v10
	ds_read_u16 v12, v9
	s_waitcnt lgkmcnt(0)
	s_barrier
	ds_write_b16 v5, v25
	ds_write_b16 v5, v21 offset:324
	ds_write_b16 v5, v19 offset:648
	ds_write_b16 v17, v26
	ds_write_b16 v17, v18 offset:324
	ds_write_b16 v17, v16 offset:648
	s_waitcnt lgkmcnt(0)
	s_barrier
	s_and_saveexec_b64 s[0:1], vcc
	s_cbranch_execz .LBB0_15
; %bb.14:
	v_lshlrev_b32_e32 v5, 1, v8
	v_lshlrev_b64 v[16:17], 2, v[5:6]
	v_lshlrev_b32_e32 v5, 1, v7
	v_mov_b32_e32 v8, s13
	v_add_co_u32_e32 v16, vcc, s12, v16
	v_lshlrev_b64 v[5:6], 2, v[5:6]
	v_addc_co_u32_e32 v17, vcc, v8, v17, vcc
	v_add_co_u32_e32 v5, vcc, s12, v5
	global_load_dwordx2 v[16:17], v[16:17], off offset:1920
	v_addc_co_u32_e32 v6, vcc, v8, v6, vcc
	global_load_dwordx2 v[5:6], v[5:6], off offset:1920
	v_mul_lo_u32 v18, s5, v3
	v_mul_lo_u32 v19, s4, v4
	v_mad_u64_u32 v[3:4], s[0:1], s4, v3, 0
	s_mov_b32 s4, 0x86d90545
	v_mul_hi_u32 v21, v7, s4
	v_mul_i32_i24_e32 v8, -10, v7
	v_add_u32_e32 v0, v0, v8
	ds_read_u16 v22, v9
	ds_read_u16 v23, v0
	v_lshrrev_b32_e32 v8, 8, v21
	v_mul_u32_u24_e32 v8, 0x1e6, v8
	v_sub_u32_e32 v21, v7, v8
	v_mad_u64_u32 v[8:9], s[0:1], s2, v21, 0
	v_lshlrev_b64 v[1:2], 2, v[1:2]
	ds_read_u16 v24, v0 offset:2430
	ds_read_u16 v25, v0 offset:1944
	;; [unrolled: 1-line block ×4, first 2 shown]
	v_mov_b32_e32 v0, v9
	v_add3_u32 v4, v4, v19, v18
	v_mad_u64_u32 v[18:19], s[0:1], s3, v21, v[0:1]
	v_lshlrev_b64 v[3:4], 2, v[3:4]
	v_mov_b32_e32 v20, s11
	v_add_co_u32_e32 v0, vcc, s10, v3
	v_addc_co_u32_e32 v19, vcc, v20, v4, vcc
	v_mov_b32_e32 v9, v18
	s_waitcnt vmcnt(1)
	v_mul_f16_sdwa v3, v15, v16 dst_sel:DWORD dst_unused:UNUSED_PAD src0_sel:DWORD src1_sel:WORD_1
	v_mul_f16_sdwa v4, v14, v17 dst_sel:DWORD dst_unused:UNUSED_PAD src0_sel:DWORD src1_sel:WORD_1
	s_waitcnt lgkmcnt(1)
	v_mul_f16_sdwa v18, v26, v16 dst_sel:DWORD dst_unused:UNUSED_PAD src0_sel:DWORD src1_sel:WORD_1
	v_mul_f16_sdwa v20, v24, v17 dst_sel:DWORD dst_unused:UNUSED_PAD src0_sel:DWORD src1_sel:WORD_1
	v_fma_f16 v3, v26, v16, -v3
	v_fma_f16 v4, v24, v17, -v4
	v_fma_f16 v15, v15, v16, v18
	v_fma_f16 v14, v14, v17, v20
	s_waitcnt vmcnt(0)
	v_mul_f16_sdwa v16, v13, v5 dst_sel:DWORD dst_unused:UNUSED_PAD src0_sel:DWORD src1_sel:WORD_1
	v_mul_f16_sdwa v17, v11, v6 dst_sel:DWORD dst_unused:UNUSED_PAD src0_sel:DWORD src1_sel:WORD_1
	s_waitcnt lgkmcnt(0)
	v_mul_f16_sdwa v18, v27, v5 dst_sel:DWORD dst_unused:UNUSED_PAD src0_sel:DWORD src1_sel:WORD_1
	v_mul_f16_sdwa v20, v25, v6 dst_sel:DWORD dst_unused:UNUSED_PAD src0_sel:DWORD src1_sel:WORD_1
	v_sub_f16_e32 v26, v15, v14
	v_fma_f16 v16, v27, v5, -v16
	v_add_f16_e32 v27, v22, v3
	v_fma_f16 v17, v25, v6, -v17
	v_add_f16_e32 v25, v15, v14
	v_add_f16_e32 v15, v12, v15
	v_fma_f16 v5, v13, v5, v18
	v_fma_f16 v6, v11, v6, v20
	v_add_f16_e32 v24, v3, v4
	v_sub_f16_e32 v3, v3, v4
	v_add_f16_e32 v13, v27, v4
	v_fma_f16 v4, v25, -0.5, v12
	v_add_f16_e32 v12, v15, v14
	v_add_f16_e32 v14, v16, v17
	v_sub_f16_e32 v15, v5, v6
	v_add_f16_e32 v20, v5, v6
	v_add_f16_e32 v5, v10, v5
	v_fma_f16 v11, v24, -0.5, v22
	v_add_f16_e32 v18, v23, v16
	v_sub_f16_e32 v16, v16, v17
	v_fma_f16 v24, v3, s7, v4
	v_fma_f16 v25, v3, s6, v4
	v_fma_f16 v3, v14, -0.5, v23
	v_fma_f16 v4, v20, -0.5, v10
	v_add_f16_e32 v6, v5, v6
	v_add_u32_e32 v5, 0x1e6, v21
	v_add_f16_e32 v14, v18, v17
	v_fma_f16 v10, v15, s6, v3
	v_fma_f16 v15, v15, s7, v3
	;; [unrolled: 1-line block ×4, first 2 shown]
	v_mad_u64_u32 v[3:4], s[0:1], s2, v5, 0
	v_add_co_u32_e32 v18, vcc, v0, v1
	v_addc_co_u32_e32 v19, vcc, v19, v2, vcc
	v_mov_b32_e32 v2, v4
	v_lshlrev_b64 v[0:1], 2, v[8:9]
	v_mad_u64_u32 v[4:5], s[0:1], s3, v5, v[2:3]
	v_add_co_u32_e32 v0, vcc, v18, v0
	v_addc_co_u32_e32 v1, vcc, v19, v1, vcc
	v_pack_b32_f16 v2, v6, v14
	global_store_dword v[0:1], v2, off
	v_lshlrev_b64 v[0:1], 2, v[3:4]
	v_add_u32_e32 v4, 0x3cc, v21
	v_mad_u64_u32 v[2:3], s[0:1], s2, v4, 0
	v_add_u32_e32 v5, 0xf3, v7
	v_mul_hi_u32 v7, v5, s4
	v_mad_u64_u32 v[3:4], s[0:1], s3, v4, v[3:4]
	s_movk_i32 s0, 0x5b2
	v_lshrrev_b32_e32 v4, 8, v7
	v_mul_u32_u24_e32 v7, 0x1e6, v4
	v_sub_u32_e32 v5, v5, v7
	v_mad_u32_u24 v7, v4, s0, v5
	v_mad_u64_u32 v[4:5], s[0:1], s2, v7, 0
	v_add_co_u32_e32 v0, vcc, v18, v0
	v_addc_co_u32_e32 v1, vcc, v19, v1, vcc
	v_pack_b32_f16 v6, v16, v15
	global_store_dword v[0:1], v6, off
	v_lshlrev_b64 v[0:1], 2, v[2:3]
	v_mov_b32_e32 v2, v5
	v_mad_u64_u32 v[2:3], s[0:1], s3, v7, v[2:3]
	v_add_co_u32_e32 v0, vcc, v18, v0
	v_addc_co_u32_e32 v1, vcc, v19, v1, vcc
	v_pack_b32_f16 v3, v17, v10
	v_mov_b32_e32 v5, v2
	global_store_dword v[0:1], v3, off
	v_lshlrev_b64 v[0:1], 2, v[4:5]
	v_add_u32_e32 v4, 0x1e6, v7
	v_mad_u64_u32 v[2:3], s[0:1], s2, v4, 0
	v_add_u32_e32 v7, 0x3cc, v7
	v_add_co_u32_e32 v0, vcc, v18, v0
	v_mad_u64_u32 v[3:4], s[0:1], s3, v4, v[3:4]
	v_mad_u64_u32 v[4:5], s[0:1], s2, v7, 0
	v_addc_co_u32_e32 v1, vcc, v19, v1, vcc
	v_pack_b32_f16 v6, v12, v13
	global_store_dword v[0:1], v6, off
	v_lshlrev_b64 v[0:1], 2, v[2:3]
	v_mov_b32_e32 v2, v5
	v_mad_u64_u32 v[2:3], s[0:1], s3, v7, v[2:3]
	v_fma_f16 v22, v26, s6, v11
	v_fma_f16 v11, v26, s7, v11
	v_add_co_u32_e32 v0, vcc, v18, v0
	v_addc_co_u32_e32 v1, vcc, v19, v1, vcc
	v_pack_b32_f16 v3, v25, v11
	v_mov_b32_e32 v5, v2
	global_store_dword v[0:1], v3, off
	v_lshlrev_b64 v[0:1], 2, v[4:5]
	v_pack_b32_f16 v2, v24, v22
	v_add_co_u32_e32 v0, vcc, v18, v0
	v_addc_co_u32_e32 v1, vcc, v19, v1, vcc
	global_store_dword v[0:1], v2, off
.LBB0_15:
	s_endpgm
	.section	.rodata,"a",@progbits
	.p2align	6, 0x0
	.amdhsa_kernel fft_rtc_back_len1458_factors_6_3_3_3_3_3_wgs_243_tpt_243_halfLds_half_op_CI_CI_sbrr_dirReg
		.amdhsa_group_segment_fixed_size 0
		.amdhsa_private_segment_fixed_size 0
		.amdhsa_kernarg_size 104
		.amdhsa_user_sgpr_count 6
		.amdhsa_user_sgpr_private_segment_buffer 1
		.amdhsa_user_sgpr_dispatch_ptr 0
		.amdhsa_user_sgpr_queue_ptr 0
		.amdhsa_user_sgpr_kernarg_segment_ptr 1
		.amdhsa_user_sgpr_dispatch_id 0
		.amdhsa_user_sgpr_flat_scratch_init 0
		.amdhsa_user_sgpr_private_segment_size 0
		.amdhsa_uses_dynamic_stack 0
		.amdhsa_system_sgpr_private_segment_wavefront_offset 0
		.amdhsa_system_sgpr_workgroup_id_x 1
		.amdhsa_system_sgpr_workgroup_id_y 0
		.amdhsa_system_sgpr_workgroup_id_z 0
		.amdhsa_system_sgpr_workgroup_info 0
		.amdhsa_system_vgpr_workitem_id 0
		.amdhsa_next_free_vgpr 31
		.amdhsa_next_free_sgpr 32
		.amdhsa_reserve_vcc 1
		.amdhsa_reserve_flat_scratch 0
		.amdhsa_float_round_mode_32 0
		.amdhsa_float_round_mode_16_64 0
		.amdhsa_float_denorm_mode_32 3
		.amdhsa_float_denorm_mode_16_64 3
		.amdhsa_dx10_clamp 1
		.amdhsa_ieee_mode 1
		.amdhsa_fp16_overflow 0
		.amdhsa_exception_fp_ieee_invalid_op 0
		.amdhsa_exception_fp_denorm_src 0
		.amdhsa_exception_fp_ieee_div_zero 0
		.amdhsa_exception_fp_ieee_overflow 0
		.amdhsa_exception_fp_ieee_underflow 0
		.amdhsa_exception_fp_ieee_inexact 0
		.amdhsa_exception_int_div_zero 0
	.end_amdhsa_kernel
	.text
.Lfunc_end0:
	.size	fft_rtc_back_len1458_factors_6_3_3_3_3_3_wgs_243_tpt_243_halfLds_half_op_CI_CI_sbrr_dirReg, .Lfunc_end0-fft_rtc_back_len1458_factors_6_3_3_3_3_3_wgs_243_tpt_243_halfLds_half_op_CI_CI_sbrr_dirReg
                                        ; -- End function
	.section	.AMDGPU.csdata,"",@progbits
; Kernel info:
; codeLenInByte = 5788
; NumSgprs: 36
; NumVgprs: 31
; ScratchSize: 0
; MemoryBound: 0
; FloatMode: 240
; IeeeMode: 1
; LDSByteSize: 0 bytes/workgroup (compile time only)
; SGPRBlocks: 4
; VGPRBlocks: 7
; NumSGPRsForWavesPerEU: 36
; NumVGPRsForWavesPerEU: 31
; Occupancy: 8
; WaveLimiterHint : 1
; COMPUTE_PGM_RSRC2:SCRATCH_EN: 0
; COMPUTE_PGM_RSRC2:USER_SGPR: 6
; COMPUTE_PGM_RSRC2:TRAP_HANDLER: 0
; COMPUTE_PGM_RSRC2:TGID_X_EN: 1
; COMPUTE_PGM_RSRC2:TGID_Y_EN: 0
; COMPUTE_PGM_RSRC2:TGID_Z_EN: 0
; COMPUTE_PGM_RSRC2:TIDIG_COMP_CNT: 0
	.type	__hip_cuid_e5a09960c3a93583,@object ; @__hip_cuid_e5a09960c3a93583
	.section	.bss,"aw",@nobits
	.globl	__hip_cuid_e5a09960c3a93583
__hip_cuid_e5a09960c3a93583:
	.byte	0                               ; 0x0
	.size	__hip_cuid_e5a09960c3a93583, 1

	.ident	"AMD clang version 19.0.0git (https://github.com/RadeonOpenCompute/llvm-project roc-6.4.0 25133 c7fe45cf4b819c5991fe208aaa96edf142730f1d)"
	.section	".note.GNU-stack","",@progbits
	.addrsig
	.addrsig_sym __hip_cuid_e5a09960c3a93583
	.amdgpu_metadata
---
amdhsa.kernels:
  - .args:
      - .actual_access:  read_only
        .address_space:  global
        .offset:         0
        .size:           8
        .value_kind:     global_buffer
      - .offset:         8
        .size:           8
        .value_kind:     by_value
      - .actual_access:  read_only
        .address_space:  global
        .offset:         16
        .size:           8
        .value_kind:     global_buffer
      - .actual_access:  read_only
        .address_space:  global
        .offset:         24
        .size:           8
        .value_kind:     global_buffer
      - .actual_access:  read_only
        .address_space:  global
        .offset:         32
        .size:           8
        .value_kind:     global_buffer
      - .offset:         40
        .size:           8
        .value_kind:     by_value
      - .actual_access:  read_only
        .address_space:  global
        .offset:         48
        .size:           8
        .value_kind:     global_buffer
      - .actual_access:  read_only
        .address_space:  global
        .offset:         56
        .size:           8
        .value_kind:     global_buffer
      - .offset:         64
        .size:           4
        .value_kind:     by_value
      - .actual_access:  read_only
        .address_space:  global
        .offset:         72
        .size:           8
        .value_kind:     global_buffer
      - .actual_access:  read_only
        .address_space:  global
        .offset:         80
        .size:           8
        .value_kind:     global_buffer
      - .actual_access:  read_only
        .address_space:  global
        .offset:         88
        .size:           8
        .value_kind:     global_buffer
      - .actual_access:  write_only
        .address_space:  global
        .offset:         96
        .size:           8
        .value_kind:     global_buffer
    .group_segment_fixed_size: 0
    .kernarg_segment_align: 8
    .kernarg_segment_size: 104
    .language:       OpenCL C
    .language_version:
      - 2
      - 0
    .max_flat_workgroup_size: 243
    .name:           fft_rtc_back_len1458_factors_6_3_3_3_3_3_wgs_243_tpt_243_halfLds_half_op_CI_CI_sbrr_dirReg
    .private_segment_fixed_size: 0
    .sgpr_count:     36
    .sgpr_spill_count: 0
    .symbol:         fft_rtc_back_len1458_factors_6_3_3_3_3_3_wgs_243_tpt_243_halfLds_half_op_CI_CI_sbrr_dirReg.kd
    .uniform_work_group_size: 1
    .uses_dynamic_stack: false
    .vgpr_count:     31
    .vgpr_spill_count: 0
    .wavefront_size: 64
amdhsa.target:   amdgcn-amd-amdhsa--gfx906
amdhsa.version:
  - 1
  - 2
...

	.end_amdgpu_metadata
